;; amdgpu-corpus repo=ROCm/rocFFT kind=compiled arch=gfx906 opt=O3
	.text
	.amdgcn_target "amdgcn-amd-amdhsa--gfx906"
	.amdhsa_code_object_version 6
	.protected	fft_rtc_fwd_len110_factors_2_5_11_wgs_198_tpt_11_half_op_CI_CI_unitstride_sbrr_C2R_dirReg ; -- Begin function fft_rtc_fwd_len110_factors_2_5_11_wgs_198_tpt_11_half_op_CI_CI_unitstride_sbrr_C2R_dirReg
	.globl	fft_rtc_fwd_len110_factors_2_5_11_wgs_198_tpt_11_half_op_CI_CI_unitstride_sbrr_C2R_dirReg
	.p2align	8
	.type	fft_rtc_fwd_len110_factors_2_5_11_wgs_198_tpt_11_half_op_CI_CI_unitstride_sbrr_C2R_dirReg,@function
fft_rtc_fwd_len110_factors_2_5_11_wgs_198_tpt_11_half_op_CI_CI_unitstride_sbrr_C2R_dirReg: ; @fft_rtc_fwd_len110_factors_2_5_11_wgs_198_tpt_11_half_op_CI_CI_unitstride_sbrr_C2R_dirReg
; %bb.0:
	v_mul_u32_u24_e32 v1, 0x1746, v0
	s_load_dwordx4 s[8:11], s[4:5], 0x58
	s_load_dwordx4 s[12:15], s[4:5], 0x0
	;; [unrolled: 1-line block ×3, first 2 shown]
	v_lshrrev_b32_e32 v1, 16, v1
	v_mad_u64_u32 v[8:9], s[0:1], s6, 18, v[1:2]
	v_mov_b32_e32 v10, 0
	s_waitcnt lgkmcnt(0)
	v_cmp_lt_u64_e64 s[0:1], s[14:15], 2
	v_mov_b32_e32 v6, 0
	v_mov_b32_e32 v9, v10
	;; [unrolled: 1-line block ×5, first 2 shown]
	s_and_b64 vcc, exec, s[0:1]
	v_mov_b32_e32 v2, v7
	v_mov_b32_e32 v4, v9
	s_cbranch_vccnz .LBB0_8
; %bb.1:
	s_load_dwordx2 s[0:1], s[4:5], 0x10
	s_add_u32 s2, s18, 8
	s_addc_u32 s3, s19, 0
	s_add_u32 s6, s16, 8
	s_addc_u32 s7, s17, 0
	v_mov_b32_e32 v6, 0
	s_waitcnt lgkmcnt(0)
	s_add_u32 s20, s0, 8
	v_mov_b32_e32 v7, 0
	v_mov_b32_e32 v1, v6
	;; [unrolled: 1-line block ×3, first 2 shown]
	s_addc_u32 s21, s1, 0
	s_mov_b64 s[22:23], 1
	v_mov_b32_e32 v2, v7
	v_mov_b32_e32 v12, v8
.LBB0_2:                                ; =>This Inner Loop Header: Depth=1
	s_load_dwordx2 s[24:25], s[20:21], 0x0
                                        ; implicit-def: $vgpr3_vgpr4
	s_waitcnt lgkmcnt(0)
	v_or_b32_e32 v11, s25, v13
	v_cmp_ne_u64_e32 vcc, 0, v[10:11]
	s_and_saveexec_b64 s[0:1], vcc
	s_xor_b64 s[26:27], exec, s[0:1]
	s_cbranch_execz .LBB0_4
; %bb.3:                                ;   in Loop: Header=BB0_2 Depth=1
	v_cvt_f32_u32_e32 v3, s24
	v_cvt_f32_u32_e32 v4, s25
	s_sub_u32 s0, 0, s24
	s_subb_u32 s1, 0, s25
	v_mac_f32_e32 v3, 0x4f800000, v4
	v_rcp_f32_e32 v3, v3
	v_mul_f32_e32 v3, 0x5f7ffffc, v3
	v_mul_f32_e32 v4, 0x2f800000, v3
	v_trunc_f32_e32 v4, v4
	v_mac_f32_e32 v3, 0xcf800000, v4
	v_cvt_u32_f32_e32 v4, v4
	v_cvt_u32_f32_e32 v3, v3
	v_mul_lo_u32 v5, s0, v4
	v_mul_hi_u32 v9, s0, v3
	v_mul_lo_u32 v14, s1, v3
	v_mul_lo_u32 v11, s0, v3
	v_add_u32_e32 v5, v9, v5
	v_add_u32_e32 v5, v5, v14
	v_mul_hi_u32 v9, v3, v11
	v_mul_lo_u32 v14, v3, v5
	v_mul_hi_u32 v16, v3, v5
	v_mul_hi_u32 v15, v4, v11
	v_mul_lo_u32 v11, v4, v11
	v_mul_hi_u32 v17, v4, v5
	v_add_co_u32_e32 v9, vcc, v9, v14
	v_addc_co_u32_e32 v14, vcc, 0, v16, vcc
	v_mul_lo_u32 v5, v4, v5
	v_add_co_u32_e32 v9, vcc, v9, v11
	v_addc_co_u32_e32 v9, vcc, v14, v15, vcc
	v_addc_co_u32_e32 v11, vcc, 0, v17, vcc
	v_add_co_u32_e32 v5, vcc, v9, v5
	v_addc_co_u32_e32 v9, vcc, 0, v11, vcc
	v_add_co_u32_e32 v3, vcc, v3, v5
	v_addc_co_u32_e32 v4, vcc, v4, v9, vcc
	v_mul_lo_u32 v5, s0, v4
	v_mul_hi_u32 v9, s0, v3
	v_mul_lo_u32 v11, s1, v3
	v_mul_lo_u32 v14, s0, v3
	v_add_u32_e32 v5, v9, v5
	v_add_u32_e32 v5, v5, v11
	v_mul_lo_u32 v15, v3, v5
	v_mul_hi_u32 v16, v3, v14
	v_mul_hi_u32 v17, v3, v5
	;; [unrolled: 1-line block ×3, first 2 shown]
	v_mul_lo_u32 v14, v4, v14
	v_mul_hi_u32 v9, v4, v5
	v_add_co_u32_e32 v15, vcc, v16, v15
	v_addc_co_u32_e32 v16, vcc, 0, v17, vcc
	v_mul_lo_u32 v5, v4, v5
	v_add_co_u32_e32 v14, vcc, v15, v14
	v_addc_co_u32_e32 v11, vcc, v16, v11, vcc
	v_addc_co_u32_e32 v9, vcc, 0, v9, vcc
	v_add_co_u32_e32 v5, vcc, v11, v5
	v_addc_co_u32_e32 v9, vcc, 0, v9, vcc
	v_add_co_u32_e32 v5, vcc, v3, v5
	v_addc_co_u32_e32 v9, vcc, v4, v9, vcc
	v_mad_u64_u32 v[3:4], s[0:1], v12, v9, 0
	v_mul_hi_u32 v11, v12, v5
	v_mad_u64_u32 v[14:15], s[0:1], v13, v9, 0
	v_add_co_u32_e32 v11, vcc, v11, v3
	v_addc_co_u32_e32 v16, vcc, 0, v4, vcc
	v_mad_u64_u32 v[3:4], s[0:1], v13, v5, 0
	v_add_co_u32_e32 v3, vcc, v11, v3
	v_addc_co_u32_e32 v3, vcc, v16, v4, vcc
	v_addc_co_u32_e32 v4, vcc, 0, v15, vcc
	v_add_co_u32_e32 v5, vcc, v3, v14
	v_addc_co_u32_e32 v9, vcc, 0, v4, vcc
	v_mul_lo_u32 v11, s25, v5
	v_mul_lo_u32 v14, s24, v9
	v_mad_u64_u32 v[3:4], s[0:1], s24, v5, 0
	v_add3_u32 v4, v4, v14, v11
	v_sub_u32_e32 v11, v13, v4
	v_mov_b32_e32 v14, s25
	v_sub_co_u32_e32 v3, vcc, v12, v3
	v_subb_co_u32_e64 v11, s[0:1], v11, v14, vcc
	v_subrev_co_u32_e64 v14, s[0:1], s24, v3
	v_subbrev_co_u32_e64 v11, s[0:1], 0, v11, s[0:1]
	v_cmp_le_u32_e64 s[0:1], s25, v11
	v_cndmask_b32_e64 v15, 0, -1, s[0:1]
	v_cmp_le_u32_e64 s[0:1], s24, v14
	v_cndmask_b32_e64 v14, 0, -1, s[0:1]
	v_cmp_eq_u32_e64 s[0:1], s25, v11
	v_cndmask_b32_e64 v11, v15, v14, s[0:1]
	v_add_co_u32_e64 v14, s[0:1], 2, v5
	v_addc_co_u32_e64 v15, s[0:1], 0, v9, s[0:1]
	v_add_co_u32_e64 v16, s[0:1], 1, v5
	v_addc_co_u32_e64 v17, s[0:1], 0, v9, s[0:1]
	v_subb_co_u32_e32 v4, vcc, v13, v4, vcc
	v_cmp_ne_u32_e64 s[0:1], 0, v11
	v_cmp_le_u32_e32 vcc, s25, v4
	v_cndmask_b32_e64 v11, v17, v15, s[0:1]
	v_cndmask_b32_e64 v15, 0, -1, vcc
	v_cmp_le_u32_e32 vcc, s24, v3
	v_cndmask_b32_e64 v3, 0, -1, vcc
	v_cmp_eq_u32_e32 vcc, s25, v4
	v_cndmask_b32_e32 v3, v15, v3, vcc
	v_cmp_ne_u32_e32 vcc, 0, v3
	v_cndmask_b32_e64 v3, v16, v14, s[0:1]
	v_cndmask_b32_e32 v4, v9, v11, vcc
	v_cndmask_b32_e32 v3, v5, v3, vcc
.LBB0_4:                                ;   in Loop: Header=BB0_2 Depth=1
	s_andn2_saveexec_b64 s[0:1], s[26:27]
	s_cbranch_execz .LBB0_6
; %bb.5:                                ;   in Loop: Header=BB0_2 Depth=1
	v_cvt_f32_u32_e32 v3, s24
	s_sub_i32 s26, 0, s24
	v_rcp_iflag_f32_e32 v3, v3
	v_mul_f32_e32 v3, 0x4f7ffffe, v3
	v_cvt_u32_f32_e32 v3, v3
	v_mul_lo_u32 v4, s26, v3
	v_mul_hi_u32 v4, v3, v4
	v_add_u32_e32 v3, v3, v4
	v_mul_hi_u32 v3, v12, v3
	v_mul_lo_u32 v4, v3, s24
	v_add_u32_e32 v5, 1, v3
	v_sub_u32_e32 v4, v12, v4
	v_subrev_u32_e32 v9, s24, v4
	v_cmp_le_u32_e32 vcc, s24, v4
	v_cndmask_b32_e32 v4, v4, v9, vcc
	v_cndmask_b32_e32 v3, v3, v5, vcc
	v_add_u32_e32 v5, 1, v3
	v_cmp_le_u32_e32 vcc, s24, v4
	v_cndmask_b32_e32 v3, v3, v5, vcc
	v_mov_b32_e32 v4, v10
.LBB0_6:                                ;   in Loop: Header=BB0_2 Depth=1
	s_or_b64 exec, exec, s[0:1]
	v_mul_lo_u32 v5, v4, s24
	v_mul_lo_u32 v9, v3, s25
	v_mad_u64_u32 v[14:15], s[0:1], v3, s24, 0
	s_load_dwordx2 s[0:1], s[6:7], 0x0
	s_load_dwordx2 s[24:25], s[2:3], 0x0
	v_add3_u32 v5, v15, v9, v5
	v_sub_co_u32_e32 v9, vcc, v12, v14
	v_subb_co_u32_e32 v5, vcc, v13, v5, vcc
	s_waitcnt lgkmcnt(0)
	v_mul_lo_u32 v11, s0, v5
	v_mul_lo_u32 v12, s1, v9
	v_mad_u64_u32 v[6:7], s[0:1], s0, v9, v[6:7]
	s_add_u32 s22, s22, 1
	s_addc_u32 s23, s23, 0
	s_add_u32 s2, s2, 8
	v_mul_lo_u32 v5, s24, v5
	v_mul_lo_u32 v13, s25, v9
	v_mad_u64_u32 v[1:2], s[0:1], s24, v9, v[1:2]
	v_add3_u32 v7, v12, v7, v11
	s_addc_u32 s3, s3, 0
	v_mov_b32_e32 v11, s14
	s_add_u32 s6, s6, 8
	v_mov_b32_e32 v12, s15
	s_addc_u32 s7, s7, 0
	v_cmp_ge_u64_e32 vcc, s[22:23], v[11:12]
	s_add_u32 s20, s20, 8
	v_add3_u32 v2, v13, v2, v5
	s_addc_u32 s21, s21, 0
	s_cbranch_vccnz .LBB0_8
; %bb.7:                                ;   in Loop: Header=BB0_2 Depth=1
	v_mov_b32_e32 v13, v4
	v_mov_b32_e32 v12, v3
	s_branch .LBB0_2
.LBB0_8:
	s_mov_b32 s0, 0x38e38e39
	v_mul_hi_u32 v5, v8, s0
	s_load_dwordx2 s[0:1], s[4:5], 0x28
	s_lshl_b64 s[6:7], s[14:15], 3
	s_add_u32 s2, s18, s6
	v_lshrrev_b32_e32 v5, 2, v5
	v_mul_lo_u32 v5, v5, 18
	s_waitcnt lgkmcnt(0)
	v_cmp_gt_u64_e32 vcc, s[0:1], v[3:4]
	v_cmp_le_u64_e64 s[0:1], s[0:1], v[3:4]
	s_addc_u32 s3, s19, s7
	v_sub_u32_e32 v8, v8, v5
                                        ; implicit-def: $vgpr5
	s_and_saveexec_b64 s[4:5], s[0:1]
	s_xor_b64 s[0:1], exec, s[4:5]
; %bb.9:
	s_mov_b32 s4, 0x1745d175
	v_mul_hi_u32 v5, v0, s4
                                        ; implicit-def: $vgpr6_vgpr7
	v_mul_u32_u24_e32 v5, 11, v5
	v_sub_u32_e32 v5, v0, v5
                                        ; implicit-def: $vgpr0
; %bb.10:
	s_or_saveexec_b64 s[4:5], s[0:1]
	s_load_dwordx2 s[2:3], s[2:3], 0x0
	v_mul_u32_u24_e32 v8, 0x6f, v8
	v_lshlrev_b32_e32 v14, 2, v8
	s_xor_b64 exec, exec, s[4:5]
	s_cbranch_execz .LBB0_14
; %bb.11:
	s_add_u32 s0, s16, s6
	s_addc_u32 s1, s17, s7
	s_load_dwordx2 s[0:1], s[0:1], 0x0
	s_mov_b32 s6, 0x1745d175
	v_mul_hi_u32 v5, v0, s6
	v_lshlrev_b64 v[6:7], 2, v[6:7]
	s_waitcnt lgkmcnt(0)
	v_mul_lo_u32 v11, s1, v3
	v_mul_lo_u32 v12, s0, v4
	v_mad_u64_u32 v[9:10], s[0:1], s0, v3, 0
	v_mul_u32_u24_e32 v5, 11, v5
	v_sub_u32_e32 v5, v0, v5
	v_add3_u32 v10, v10, v12, v11
	v_lshlrev_b64 v[9:10], 2, v[9:10]
	v_mov_b32_e32 v0, s9
	v_add_co_u32_e64 v9, s[0:1], s8, v9
	v_addc_co_u32_e64 v0, s[0:1], v0, v10, s[0:1]
	v_add_co_u32_e64 v6, s[0:1], v9, v6
	v_addc_co_u32_e64 v7, s[0:1], v0, v7, s[0:1]
	v_lshlrev_b32_e32 v0, 2, v5
	v_add_co_u32_e64 v9, s[0:1], v6, v0
	v_addc_co_u32_e64 v10, s[0:1], 0, v7, s[0:1]
	global_load_dword v11, v[9:10], off
	global_load_dword v12, v[9:10], off offset:44
	global_load_dword v13, v[9:10], off offset:88
	;; [unrolled: 1-line block ×9, first 2 shown]
	v_add3_u32 v0, 0, v14, v0
	v_cmp_eq_u32_e64 s[0:1], 10, v5
	s_waitcnt vmcnt(8)
	ds_write2_b32 v0, v11, v12 offset1:11
	s_waitcnt vmcnt(6)
	ds_write2_b32 v0, v13, v15 offset0:22 offset1:33
	s_waitcnt vmcnt(4)
	ds_write2_b32 v0, v16, v17 offset0:44 offset1:55
	;; [unrolled: 2-line block ×4, first 2 shown]
	s_and_saveexec_b64 s[6:7], s[0:1]
	s_cbranch_execz .LBB0_13
; %bb.12:
	global_load_dword v5, v[6:7], off offset:440
	s_waitcnt vmcnt(0)
	ds_write_b32 v0, v5 offset:400
	v_mov_b32_e32 v5, 10
.LBB0_13:
	s_or_b64 exec, exec, s[6:7]
.LBB0_14:
	s_or_b64 exec, exec, s[4:5]
	v_lshl_add_u32 v0, v8, 2, 0
	v_lshlrev_b32_e32 v9, 2, v5
	v_add_u32_e32 v16, v0, v9
	s_waitcnt lgkmcnt(0)
	s_barrier
	v_sub_u32_e32 v8, v0, v9
	ds_read_u16 v12, v16
	ds_read_u16 v13, v8 offset:440
	v_cmp_ne_u32_e64 s[0:1], 0, v5
                                        ; implicit-def: $vgpr6_vgpr7
	s_waitcnt lgkmcnt(0)
	v_add_f16_e32 v10, v13, v12
	v_sub_f16_e32 v11, v12, v13
	s_and_saveexec_b64 s[4:5], s[0:1]
	s_xor_b64 s[4:5], exec, s[4:5]
	s_cbranch_execz .LBB0_16
; %bb.15:
	v_mov_b32_e32 v6, 0
	v_lshlrev_b64 v[10:11], 2, v[5:6]
	v_mov_b32_e32 v7, s13
	v_add_co_u32_e64 v10, s[0:1], s12, v10
	v_addc_co_u32_e64 v11, s[0:1], v7, v11, s[0:1]
	global_load_dword v7, v[10:11], off offset:432
	ds_read_u16 v10, v8 offset:442
	ds_read_u16 v11, v16 offset:2
	v_add_f16_e32 v15, v13, v12
	v_sub_f16_e32 v12, v12, v13
	s_waitcnt lgkmcnt(0)
	v_add_f16_e32 v13, v10, v11
	v_sub_f16_e32 v10, v11, v10
	s_waitcnt vmcnt(0)
	v_lshrrev_b32_e32 v11, 16, v7
	v_fma_f16 v17, v12, v11, v15
	v_fma_f16 v18, v13, v11, v10
	v_fma_f16 v15, -v12, v11, v15
	v_fma_f16 v19, v13, v11, -v10
	v_fma_f16 v10, -v7, v13, v17
	v_fma_f16 v11, v12, v7, v18
	v_fma_f16 v13, v7, v13, v15
	;; [unrolled: 1-line block ×3, first 2 shown]
	v_pack_b32_f16 v7, v13, v7
	ds_write_b32 v8, v7 offset:440
	v_mov_b32_e32 v7, v6
	v_mov_b32_e32 v6, v5
.LBB0_16:
	s_andn2_saveexec_b64 s[0:1], s[4:5]
	s_cbranch_execz .LBB0_18
; %bb.17:
	ds_read_b32 v6, v0 offset:220
	s_mov_b32 s4, 0xc0004000
	s_waitcnt lgkmcnt(0)
	v_pk_mul_f16 v12, v6, s4
	v_mov_b32_e32 v6, 0
	v_mov_b32_e32 v7, 0
	ds_write_b32 v0, v12 offset:220
.LBB0_18:
	s_or_b64 exec, exec, s[0:1]
	s_add_u32 s0, s12, 0x1b0
	v_lshlrev_b64 v[6:7], 2, v[6:7]
	s_addc_u32 s1, s13, 0
	v_mov_b32_e32 v12, s1
	v_add_co_u32_e64 v6, s[0:1], s0, v6
	v_addc_co_u32_e64 v7, s[0:1], v12, v7, s[0:1]
	global_load_dword v12, v[6:7], off offset:44
	global_load_dword v13, v[6:7], off offset:88
	;; [unrolled: 1-line block ×4, first 2 shown]
	s_mov_b32 s0, 0x5040100
	v_perm_b32 v6, v11, v10, s0
	ds_write_b32 v16, v6
	ds_read_b32 v6, v16 offset:44
	ds_read_b32 v7, v8 offset:396
	v_and_b32_e32 v27, 1, v5
	s_movk_i32 s0, 0x3b9c
	s_mov_b32 s4, 0xbb9c
	s_movk_i32 s1, 0x38b4
	s_waitcnt lgkmcnt(0)
	v_add_f16_e32 v10, v6, v7
	v_add_f16_sdwa v11, v7, v6 dst_sel:DWORD dst_unused:UNUSED_PAD src0_sel:WORD_1 src1_sel:WORD_1
	v_sub_f16_e32 v15, v6, v7
	v_sub_f16_sdwa v6, v6, v7 dst_sel:DWORD dst_unused:UNUSED_PAD src0_sel:WORD_1 src1_sel:WORD_1
	s_mov_b32 s5, 0xb8b4
	s_movk_i32 s6, 0x34f2
	s_waitcnt vmcnt(3)
	v_lshrrev_b32_e32 v7, 16, v12
	v_fma_f16 v17, v15, v7, v10
	v_fma_f16 v20, v11, v7, v6
	v_fma_f16 v10, -v15, v7, v10
	v_fma_f16 v6, v11, v7, -v6
	v_fma_f16 v7, -v12, v11, v17
	v_fma_f16 v17, v15, v12, v20
	v_fma_f16 v10, v12, v11, v10
	;; [unrolled: 1-line block ×3, first 2 shown]
	v_pack_b32_f16 v7, v7, v17
	v_pack_b32_f16 v6, v10, v6
	ds_write_b32 v16, v7 offset:44
	ds_write_b32 v8, v6 offset:396
	ds_read_b32 v6, v16 offset:88
	ds_read_b32 v7, v8 offset:352
	s_waitcnt vmcnt(2)
	v_lshrrev_b32_e32 v10, 16, v13
	v_add_u32_e32 v15, 11, v5
	v_and_b32_e32 v26, 1, v15
	s_waitcnt lgkmcnt(0)
	v_add_f16_e32 v11, v6, v7
	v_add_f16_sdwa v12, v7, v6 dst_sel:DWORD dst_unused:UNUSED_PAD src0_sel:WORD_1 src1_sel:WORD_1
	v_sub_f16_e32 v17, v6, v7
	v_sub_f16_sdwa v6, v6, v7 dst_sel:DWORD dst_unused:UNUSED_PAD src0_sel:WORD_1 src1_sel:WORD_1
	v_fma_f16 v7, v17, v10, v11
	v_fma_f16 v20, v12, v10, v6
	v_fma_f16 v11, -v17, v10, v11
	v_fma_f16 v6, v12, v10, -v6
	v_fma_f16 v7, -v13, v12, v7
	v_fma_f16 v10, v17, v13, v20
	v_fma_f16 v11, v13, v12, v11
	;; [unrolled: 1-line block ×3, first 2 shown]
	v_pack_b32_f16 v7, v7, v10
	v_pack_b32_f16 v6, v11, v6
	ds_write_b32 v16, v7 offset:88
	ds_write_b32 v8, v6 offset:352
	ds_read_b32 v6, v16 offset:132
	ds_read_b32 v7, v8 offset:308
	v_add3_u32 v17, 0, v9, v14
	v_add_u32_e32 v20, v17, v9
	s_waitcnt vmcnt(1)
	v_lshrrev_b32_e32 v9, 16, v18
	v_lshlrev_b32_e32 v10, 3, v5
	s_waitcnt lgkmcnt(0)
	v_add_f16_e32 v11, v6, v7
	v_add_f16_sdwa v12, v7, v6 dst_sel:DWORD dst_unused:UNUSED_PAD src0_sel:WORD_1 src1_sel:WORD_1
	v_sub_f16_e32 v13, v6, v7
	v_sub_f16_sdwa v6, v6, v7 dst_sel:DWORD dst_unused:UNUSED_PAD src0_sel:WORD_1 src1_sel:WORD_1
	v_fma_f16 v7, v13, v9, v11
	v_fma_f16 v21, v12, v9, v6
	v_fma_f16 v11, -v13, v9, v11
	v_fma_f16 v6, v12, v9, -v6
	v_fma_f16 v7, -v18, v12, v7
	v_fma_f16 v9, v13, v18, v21
	v_fma_f16 v11, v18, v12, v11
	;; [unrolled: 1-line block ×3, first 2 shown]
	v_pack_b32_f16 v7, v7, v9
	v_pack_b32_f16 v6, v11, v6
	ds_write_b32 v16, v7 offset:132
	ds_write_b32 v8, v6 offset:308
	ds_read_b32 v6, v16 offset:176
	ds_read_b32 v7, v8 offset:264
	v_lshlrev_b32_e32 v9, 3, v15
	v_add3_u32 v18, v10, 0, v14
	v_add3_u32 v21, 0, v9, v14
	s_waitcnt vmcnt(0)
	v_lshrrev_b32_e32 v9, 16, v19
	s_waitcnt lgkmcnt(0)
	v_add_f16_e32 v10, v6, v7
	v_add_f16_sdwa v11, v7, v6 dst_sel:DWORD dst_unused:UNUSED_PAD src0_sel:WORD_1 src1_sel:WORD_1
	v_sub_f16_e32 v12, v6, v7
	v_sub_f16_sdwa v6, v6, v7 dst_sel:DWORD dst_unused:UNUSED_PAD src0_sel:WORD_1 src1_sel:WORD_1
	v_fma_f16 v7, v12, v9, v10
	v_fma_f16 v13, v11, v9, v6
	v_fma_f16 v10, -v12, v9, v10
	v_fma_f16 v6, v11, v9, -v6
	v_fma_f16 v7, -v19, v11, v7
	v_fma_f16 v9, v12, v19, v13
	v_fma_f16 v10, v19, v11, v10
	;; [unrolled: 1-line block ×3, first 2 shown]
	v_pack_b32_f16 v7, v7, v9
	v_pack_b32_f16 v6, v10, v6
	ds_write_b32 v16, v7 offset:176
	ds_write_b32 v8, v6 offset:264
	s_waitcnt lgkmcnt(0)
	s_barrier
	s_barrier
	ds_read2_b32 v[6:7], v17 offset0:55 offset1:66
	ds_read2_b32 v[8:9], v17 offset0:11 offset1:22
	;; [unrolled: 1-line block ×4, first 2 shown]
	ds_read_b32 v19, v16
	ds_read_b32 v22, v17 offset:396
	s_waitcnt lgkmcnt(4)
	v_pk_add_f16 v7, v8, v7 neg_lo:[0,1] neg_hi:[0,1]
	s_waitcnt lgkmcnt(3)
	v_pk_add_f16 v10, v9, v10 neg_lo:[0,1] neg_hi:[0,1]
	;; [unrolled: 2-line block ×5, first 2 shown]
	v_pk_fma_f16 v19, v19, 2.0, v6 op_sel_hi:[1,0,1] neg_lo:[0,0,1] neg_hi:[0,0,1]
	s_barrier
	v_pk_fma_f16 v8, v8, 2.0, v7 op_sel_hi:[1,0,1] neg_lo:[0,0,1] neg_hi:[0,0,1]
	v_pk_fma_f16 v9, v9, 2.0, v10 op_sel_hi:[1,0,1] neg_lo:[0,0,1] neg_hi:[0,0,1]
	;; [unrolled: 1-line block ×4, first 2 shown]
	ds_write2_b32 v20, v19, v6 offset1:1
	ds_write2_b32 v21, v8, v7 offset1:1
	ds_write2_b32 v18, v9, v10 offset0:44 offset1:45
	ds_write2_b32 v20, v12, v11 offset0:66 offset1:67
	;; [unrolled: 1-line block ×3, first 2 shown]
	v_lshlrev_b32_e32 v6, 4, v26
	v_lshlrev_b32_e32 v10, 4, v27
	s_waitcnt lgkmcnt(0)
	s_barrier
	global_load_dwordx4 v[6:9], v6, s[12:13]
	v_lshrrev_b32_e32 v15, 1, v15
	global_load_dwordx4 v[10:13], v10, s[12:13]
	ds_read2_b32 v[18:19], v17 offset0:55 offset1:66
	ds_read2_b32 v[20:21], v17 offset0:33 offset1:44
	ds_read2_b32 v[22:23], v17 offset0:77 offset1:88
	ds_read_b32 v28, v17 offset:396
	ds_read2_b32 v[24:25], v17 offset0:11 offset1:22
	ds_read_u16 v29, v17 offset:134
	ds_read_b32 v30, v16
	s_waitcnt lgkmcnt(5)
	v_lshrrev_b32_e32 v34, 16, v21
	s_waitcnt lgkmcnt(3)
	v_lshrrev_b32_e32 v32, 16, v28
	v_lshrrev_b32_e32 v35, 16, v19
	;; [unrolled: 1-line block ×3, first 2 shown]
	s_waitcnt lgkmcnt(2)
	v_lshrrev_b32_e32 v37, 16, v25
	v_lshrrev_b32_e32 v31, 16, v18
	;; [unrolled: 1-line block ×3, first 2 shown]
	s_waitcnt vmcnt(0) lgkmcnt(0)
	s_barrier
	v_mul_u32_u24_e32 v15, 10, v15
	v_or_b32_e32 v15, v15, v26
	v_lshlrev_b32_e32 v15, 2, v15
	v_add3_u32 v15, 0, v15, v14
	v_mul_f16_sdwa v38, v32, v9 dst_sel:DWORD dst_unused:UNUSED_PAD src0_sel:DWORD src1_sel:WORD_1
	v_mul_f16_sdwa v41, v29, v6 dst_sel:DWORD dst_unused:UNUSED_PAD src0_sel:DWORD src1_sel:WORD_1
	v_mul_f16_sdwa v46, v11, v34 dst_sel:DWORD dst_unused:UNUSED_PAD src0_sel:WORD_1 src1_sel:DWORD
	v_mul_f16_sdwa v48, v12, v35 dst_sel:DWORD dst_unused:UNUSED_PAD src0_sel:WORD_1 src1_sel:DWORD
	;; [unrolled: 1-line block ×4, first 2 shown]
	v_mul_f16_sdwa v39, v28, v9 dst_sel:DWORD dst_unused:UNUSED_PAD src0_sel:DWORD src1_sel:WORD_1
	v_mul_f16_sdwa v40, v6, v20 dst_sel:DWORD dst_unused:UNUSED_PAD src0_sel:WORD_1 src1_sel:DWORD
	v_mul_f16_sdwa v42, v18, v7 dst_sel:DWORD dst_unused:UNUSED_PAD src0_sel:DWORD src1_sel:WORD_1
	v_mul_f16_sdwa v43, v31, v7 dst_sel:DWORD dst_unused:UNUSED_PAD src0_sel:DWORD src1_sel:WORD_1
	;; [unrolled: 1-line block ×3, first 2 shown]
	v_mul_f16_sdwa v47, v11, v21 dst_sel:DWORD dst_unused:UNUSED_PAD src0_sel:WORD_1 src1_sel:DWORD
	v_mul_f16_sdwa v49, v12, v19 dst_sel:DWORD dst_unused:UNUSED_PAD src0_sel:WORD_1 src1_sel:DWORD
	;; [unrolled: 1-line block ×4, first 2 shown]
	v_fma_f16 v28, v28, v9, -v38
	v_fma_f16 v38, v6, v20, -v41
	;; [unrolled: 1-line block ×6, first 2 shown]
	v_mul_f16_sdwa v44, v22, v8 dst_sel:DWORD dst_unused:UNUSED_PAD src0_sel:DWORD src1_sel:WORD_1
	v_fma_f16 v32, v32, v9, v39
	v_fma_f16 v29, v29, v6, v40
	;; [unrolled: 1-line block ×3, first 2 shown]
	v_fma_f16 v39, v18, v7, -v43
	v_fma_f16 v40, v22, v8, -v45
	v_fma_f16 v22, v11, v34, v47
	v_fma_f16 v12, v12, v35, v49
	;; [unrolled: 1-line block ×4, first 2 shown]
	v_sub_f16_e32 v6, v25, v20
	v_sub_f16_e32 v7, v21, v19
	v_add_f16_e32 v10, v20, v19
	v_add_f16_e32 v11, v25, v21
	v_fma_f16 v33, v33, v8, v44
	v_sub_f16_e32 v8, v20, v25
	v_sub_f16_e32 v9, v19, v21
	;; [unrolled: 1-line block ×4, first 2 shown]
	v_add_f16_e32 v35, v6, v7
	v_fma_f16 v6, v10, -0.5, v30
	v_fma_f16 v7, v11, -0.5, v30
	v_add_f16_e32 v8, v8, v9
	v_fma_f16 v9, v18, s0, v6
	v_fma_f16 v6, v18, s4, v6
	;; [unrolled: 1-line block ×11, first 2 shown]
	v_sub_f16_e32 v10, v39, v38
	v_sub_f16_e32 v11, v40, v28
	v_add_f16_e32 v11, v10, v11
	v_add_f16_e32 v10, v38, v28
	v_fma_f16 v10, v10, -0.5, v24
	v_sub_f16_e32 v35, v31, v33
	v_fma_f16 v8, v8, s6, v18
	v_sub_f16_e32 v34, v29, v32
	v_fma_f16 v18, v35, s4, v10
	v_fma_f16 v18, v34, s1, v18
	;; [unrolled: 1-line block ×5, first 2 shown]
	v_add_f16_e32 v18, v30, v25
	v_add_f16_e32 v18, v18, v20
	v_fma_f16 v11, v11, s6, v36
	v_add_f16_e32 v18, v18, v19
	v_sub_f16_e32 v36, v20, v19
	v_sub_f16_e32 v19, v23, v22
	;; [unrolled: 1-line block ×3, first 2 shown]
	v_add_f16_e32 v37, v19, v20
	v_lshrrev_b32_e32 v19, 1, v5
	v_mul_u32_u24_e32 v19, 10, v19
	v_add_f16_e32 v18, v18, v21
	v_sub_f16_e32 v25, v25, v21
	v_or_b32_e32 v21, v19, v27
	v_lshrrev_b32_e32 v27, 16, v30
	v_add_f16_e32 v20, v22, v12
	v_add_f16_e32 v19, v27, v23
	v_fma_f16 v30, v20, -0.5, v27
	v_add_f16_e32 v19, v19, v22
	v_fma_f16 v20, v25, s4, v30
	v_add_f16_e32 v19, v19, v12
	v_fma_f16 v20, v36, s5, v20
	;; [unrolled: 2-line block ×3, first 2 shown]
	v_lshlrev_b32_e32 v21, 2, v21
	v_add3_u32 v41, 0, v21, v14
	v_pack_b32_f16 v21, v18, v19
	v_pack_b32_f16 v42, v6, v20
	ds_write2_b32 v41, v21, v42 offset1:2
	v_add_f16_e32 v21, v23, v13
	v_fma_f16 v27, v21, -0.5, v27
	v_sub_f16_e32 v21, v22, v23
	v_sub_f16_e32 v12, v12, v13
	v_fma_f16 v13, v36, s0, v27
	v_add_f16_e32 v12, v21, v12
	v_fma_f16 v13, v25, s5, v13
	v_fma_f16 v21, v12, s6, v13
	;; [unrolled: 1-line block ×5, first 2 shown]
	v_pack_b32_f16 v12, v7, v21
	v_pack_b32_f16 v13, v8, v22
	ds_write2_b32 v41, v12, v13 offset0:4 offset1:6
	v_fma_f16 v12, v25, s0, v30
	v_fma_f16 v12, v36, s1, v12
	;; [unrolled: 1-line block ×3, first 2 shown]
	v_pack_b32_f16 v12, v9, v23
	ds_write_b32 v41, v12 offset:32
	v_add_f16_e32 v12, v39, v40
	v_fma_f16 v27, v12, -0.5, v24
	v_lshrrev_b32_e32 v25, 16, v24
	v_add_f16_e32 v12, v24, v38
	v_add_f16_e32 v12, v12, v39
	;; [unrolled: 1-line block ×3, first 2 shown]
	v_sub_f16_e32 v13, v38, v39
	v_sub_f16_e32 v24, v28, v40
	v_add_f16_e32 v12, v12, v40
	v_add_f16_e32 v14, v14, v31
	;; [unrolled: 1-line block ×4, first 2 shown]
	v_sub_f16_e32 v36, v38, v28
	v_sub_f16_e32 v24, v29, v31
	v_sub_f16_e32 v28, v32, v33
	v_add_f16_e32 v14, v14, v33
	v_add_f16_e32 v38, v24, v28
	v_add_f16_e32 v24, v14, v32
	v_add_f16_e32 v14, v31, v33
	v_fma_f16 v14, v14, -0.5, v25
	v_fma_f16 v13, v34, s0, v27
	v_sub_f16_e32 v37, v39, v40
	v_fma_f16 v26, v36, s4, v14
	v_fma_f16 v13, v35, s1, v13
	;; [unrolled: 1-line block ×5, first 2 shown]
	v_pack_b32_f16 v28, v12, v24
	v_pack_b32_f16 v39, v13, v26
	ds_write2_b32 v15, v28, v39 offset1:2
	v_add_f16_e32 v28, v29, v32
	v_fma_f16 v25, v28, -0.5, v25
	v_sub_f16_e32 v28, v31, v29
	v_sub_f16_e32 v29, v33, v32
	v_add_f16_e32 v29, v28, v29
	v_fma_f16 v28, v37, s0, v25
	v_fma_f16 v25, v37, s4, v25
	;; [unrolled: 1-line block ×6, first 2 shown]
	v_pack_b32_f16 v29, v10, v28
	v_pack_b32_f16 v31, v11, v25
	v_fma_f16 v27, v34, s4, v27
	v_fma_f16 v14, v36, s0, v14
	ds_write2_b32 v15, v29, v31 offset0:4 offset1:6
	v_fma_f16 v29, v35, s5, v27
	v_fma_f16 v14, v37, s1, v14
	;; [unrolled: 1-line block ×4, first 2 shown]
	v_pack_b32_f16 v29, v14, v27
	v_cmp_gt_u32_e64 s[0:1], 10, v5
	ds_write_b32 v15, v29 offset:32
	s_waitcnt lgkmcnt(0)
	s_barrier
	s_waitcnt lgkmcnt(0)
                                        ; implicit-def: $vgpr29
	s_and_saveexec_b64 s[4:5], s[0:1]
	s_cbranch_execz .LBB0_20
; %bb.19:
	ds_read_b32 v18, v16
	ds_read2_b32 v[6:7], v17 offset0:10 offset1:20
	ds_read2_b32 v[10:11], v17 offset0:70 offset1:80
	;; [unrolled: 1-line block ×5, first 2 shown]
	s_waitcnt lgkmcnt(5)
	v_lshrrev_b32_e32 v19, 16, v18
	s_waitcnt lgkmcnt(3)
	v_lshrrev_b32_e32 v25, 16, v11
	;; [unrolled: 2-line block ×3, first 2 shown]
	v_lshrrev_b32_e32 v29, 16, v15
	v_lshrrev_b32_e32 v20, 16, v6
	;; [unrolled: 1-line block ×3, first 2 shown]
	s_waitcnt lgkmcnt(1)
	v_lshrrev_b32_e32 v22, 16, v8
	v_lshrrev_b32_e32 v23, 16, v9
	s_waitcnt lgkmcnt(0)
	v_lshrrev_b32_e32 v24, 16, v12
	v_lshrrev_b32_e32 v26, 16, v13
	v_lshrrev_b32_e32 v28, 16, v10
.LBB0_20:
	s_or_b64 exec, exec, s[4:5]
	s_barrier
	s_and_saveexec_b64 s[4:5], s[0:1]
	s_cbranch_execz .LBB0_22
; %bb.21:
	v_add_u32_e32 v30, -10, v5
	v_cndmask_b32_e64 v30, v30, v5, s[0:1]
	v_mul_i32_i24_e32 v30, 10, v30
	v_mov_b32_e32 v31, 0
	v_lshlrev_b64 v[30:31], 2, v[30:31]
	v_mov_b32_e32 v32, s13
	v_add_co_u32_e64 v38, s[0:1], s12, v30
	v_addc_co_u32_e64 v39, s[0:1], v32, v31, s[0:1]
	global_load_dwordx2 v[40:41], v[38:39], off offset:64
	global_load_dwordx4 v[30:33], v[38:39], off offset:32
	global_load_dwordx4 v[34:37], v[38:39], off offset:48
	s_movk_i32 s0, 0x36a6
	s_movk_i32 s6, 0x3b47
	s_mov_b32 s1, 0xb93d
	s_movk_i32 s12, 0x3a0c
	s_mov_b32 s8, 0xb482
	s_mov_b32 s9, 0xbbeb
	;; [unrolled: 1-line block ×5, first 2 shown]
	s_movk_i32 s15, 0x3abb
	s_movk_i32 s16, 0x3beb
	s_mov_b32 s17, 0xbb47
	s_movk_i32 s18, 0x3853
	s_movk_i32 s19, 0x3482
	s_waitcnt vmcnt(2)
	v_mul_f16_sdwa v38, v15, v41 dst_sel:DWORD dst_unused:UNUSED_PAD src0_sel:DWORD src1_sel:WORD_1
	s_waitcnt vmcnt(1)
	v_mul_f16_sdwa v39, v6, v30 dst_sel:DWORD dst_unused:UNUSED_PAD src0_sel:DWORD src1_sel:WORD_1
	v_mul_f16_sdwa v42, v20, v30 dst_sel:DWORD dst_unused:UNUSED_PAD src0_sel:DWORD src1_sel:WORD_1
	;; [unrolled: 1-line block ×5, first 2 shown]
	s_waitcnt vmcnt(0)
	v_mul_f16_sdwa v48, v11, v37 dst_sel:DWORD dst_unused:UNUSED_PAD src0_sel:DWORD src1_sel:WORD_1
	v_mul_f16_sdwa v51, v25, v37 dst_sel:DWORD dst_unused:UNUSED_PAD src0_sel:DWORD src1_sel:WORD_1
	v_fma_f16 v29, v29, v41, v38
	v_fma_f16 v20, v20, v30, v39
	v_mul_f16_sdwa v46, v21, v31 dst_sel:DWORD dst_unused:UNUSED_PAD src0_sel:DWORD src1_sel:WORD_1
	v_mul_f16_sdwa v47, v27, v40 dst_sel:DWORD dst_unused:UNUSED_PAD src0_sel:DWORD src1_sel:WORD_1
	;; [unrolled: 1-line block ×6, first 2 shown]
	v_fma_f16 v15, v15, v41, -v43
	v_fma_f16 v27, v27, v40, v44
	v_fma_f16 v6, v6, v30, -v42
	v_fma_f16 v21, v21, v31, v45
	v_fma_f16 v25, v25, v37, v48
	v_fma_f16 v11, v11, v37, -v51
	v_add_f16_e32 v30, v20, v29
	v_sub_f16_e32 v37, v20, v29
	v_mul_f16_sdwa v53, v9, v33 dst_sel:DWORD dst_unused:UNUSED_PAD src0_sel:DWORD src1_sel:WORD_1
	v_mul_f16_sdwa v54, v23, v33 dst_sel:DWORD dst_unused:UNUSED_PAD src0_sel:DWORD src1_sel:WORD_1
	;; [unrolled: 1-line block ×4, first 2 shown]
	v_fma_f16 v14, v14, v40, -v47
	v_fma_f16 v7, v7, v31, -v46
	v_fma_f16 v22, v22, v32, v49
	v_fma_f16 v8, v8, v32, -v50
	v_fma_f16 v28, v28, v36, v52
	v_fma_f16 v10, v10, v36, -v55
	v_sub_f16_e32 v31, v6, v15
	v_add_f16_e32 v32, v21, v27
	v_add_f16_e32 v36, v6, v15
	v_sub_f16_e32 v39, v21, v27
	v_mul_f16_e32 v45, 0x36a6, v30
	v_mul_f16_e32 v48, 0xbb47, v37
	v_mul_f16_sdwa v56, v13, v35 dst_sel:DWORD dst_unused:UNUSED_PAD src0_sel:DWORD src1_sel:WORD_1
	v_mul_f16_sdwa v59, v26, v35 dst_sel:DWORD dst_unused:UNUSED_PAD src0_sel:DWORD src1_sel:WORD_1
	v_fma_f16 v23, v23, v33, v53
	v_fma_f16 v9, v9, v33, -v54
	v_fma_f16 v24, v24, v34, v57
	v_fma_f16 v12, v12, v34, -v58
	v_sub_f16_e32 v33, v7, v14
	v_add_f16_e32 v34, v22, v25
	v_add_f16_e32 v38, v7, v14
	v_mul_f16_e32 v46, 0xb93d, v32
	v_mul_f16_e32 v49, 0xba0c, v39
	v_fma_f16 v52, v31, s6, v45
	v_fma_f16 v54, v36, s0, v48
	;; [unrolled: 1-line block ×3, first 2 shown]
	v_fma_f16 v13, v13, v35, -v59
	v_sub_f16_e32 v35, v8, v11
	v_add_f16_e32 v40, v23, v28
	v_mul_f16_e32 v47, 0xbbad, v34
	v_fma_f16 v53, v33, s12, v46
	v_fma_f16 v55, v38, s1, v49
	v_add_f16_e32 v52, v19, v52
	v_add_f16_e32 v54, v18, v54
	v_sub_f16_e32 v41, v9, v10
	v_add_f16_e32 v42, v24, v26
	v_mul_f16_e32 v50, 0xb08e, v40
	v_fma_f16 v56, v35, s8, v47
	v_add_f16_e32 v52, v53, v52
	v_add_f16_e32 v53, v55, v54
	v_sub_f16_e32 v54, v22, v25
	v_sub_f16_e32 v43, v12, v13
	v_add_f16_e32 v44, v8, v11
	v_mul_f16_e32 v51, 0x3abb, v42
	v_fma_f16 v57, v41, s9, v50
	v_add_f16_e32 v52, v56, v52
	v_mul_f16_e32 v55, 0x3482, v54
	v_fma_f16 v58, v43, s14, v51
	v_add_f16_e32 v52, v57, v52
	v_fma_f16 v56, v44, s7, v55
	v_sub_f16_e32 v57, v23, v28
	v_add_f16_e32 v52, v58, v52
	v_add_f16_e32 v53, v56, v53
	;; [unrolled: 1-line block ×3, first 2 shown]
	v_mul_f16_e32 v58, 0x3beb, v57
	v_fma_f16 v59, v56, s13, v58
	v_sub_f16_e32 v60, v24, v26
	v_add_f16_e32 v53, v59, v53
	v_add_f16_e32 v59, v12, v13
	v_mul_f16_e32 v61, 0x3853, v60
	v_fma_f16 v62, v59, s15, v61
	v_add_f16_e32 v53, v62, v53
	v_mul_f16_e32 v62, 0xb08e, v30
	v_fma_f16 v63, v31, s16, v62
	v_mul_f16_e32 v64, 0xbbad, v32
	v_add_f16_e32 v63, v19, v63
	v_fma_f16 v65, v33, s8, v64
	v_add_f16_e32 v63, v65, v63
	v_mul_f16_e32 v65, 0x36a6, v34
	v_fma_f16 v66, v35, s17, v65
	v_add_f16_e32 v63, v66, v63
	v_mul_f16_e32 v66, 0x3abb, v40
	v_fma_f16 v67, v41, s18, v66
	v_add_f16_e32 v63, v67, v63
	v_mul_f16_e32 v67, 0xb93d, v42
	v_fma_f16 v68, v43, s12, v67
	v_add_f16_e32 v63, v68, v63
	v_mul_f16_e32 v68, 0xbbeb, v37
	v_fma_f16 v69, v36, s13, v68
	v_mul_f16_e32 v70, 0x3482, v39
	v_add_f16_e32 v69, v18, v69
	v_fma_f16 v71, v38, s7, v70
	v_add_f16_e32 v69, v71, v69
	v_mul_f16_e32 v71, 0x3b47, v54
	v_fma_f16 v72, v44, s0, v71
	v_add_f16_e32 v69, v72, v69
	v_mul_f16_e32 v72, 0xb853, v57
	v_fma_f16 v73, v56, s15, v72
	;; [unrolled: 15-line block ×4, first 2 shown]
	v_add_f16_e32 v81, v85, v81
	v_mul_f16_e32 v85, 0x3b47, v60
	v_fma_f16 v86, v59, s0, v85
	v_add_f16_e32 v81, v86, v81
	v_mul_f16_e32 v86, 0xbbad, v30
	v_fma_f16 v87, v31, s19, v86
	v_mul_f16_e32 v88, 0x3abb, v32
	v_add_f16_e32 v87, v19, v87
	v_fma_f16 v89, v33, s14, v88
	v_add_f16_e32 v87, v89, v87
	v_mul_f16_e32 v89, 0xb93d, v34
	v_fma_f16 v90, v35, s12, v89
	s_mov_b32 s12, 0xba0c
	v_fma_f16 v45, v31, s17, v45
	v_add_f16_e32 v45, v19, v45
	v_fma_f16 v46, v33, s12, v46
	v_add_f16_e32 v45, v46, v45
	;; [unrolled: 2-line block ×5, first 2 shown]
	v_fma_f16 v46, v36, s0, -v48
	v_add_f16_e32 v46, v18, v46
	v_fma_f16 v47, v38, s1, -v49
	v_add_f16_e32 v46, v47, v46
	v_fma_f16 v47, v44, s7, -v55
	v_add_f16_e32 v46, v47, v46
	v_fma_f16 v47, v56, s13, -v58
	v_fma_f16 v86, v31, s8, v86
	v_fma_f16 v74, v31, s12, v74
	v_fma_f16 v62, v31, s9, v62
	v_add_f16_e32 v46, v47, v46
	v_fma_f16 v47, v59, s15, -v61
	v_mul_f16_e32 v31, 0xb853, v31
	v_add_f16_e32 v87, v90, v87
	v_mul_f16_e32 v90, 0x36a6, v40
	v_add_f16_e32 v86, v19, v86
	v_fma_f16 v88, v33, s18, v88
	v_add_f16_e32 v74, v19, v74
	v_fma_f16 v76, v33, s16, v76
	;; [unrolled: 2-line block ×4, first 2 shown]
	v_mul_f16_e32 v33, 0xbb47, v33
	v_fma_f16 v91, v41, s17, v90
	v_add_f16_e32 v86, v88, v86
	v_fma_f16 v88, v35, s12, v89
	v_add_f16_e32 v74, v76, v74
	;; [unrolled: 2-line block ×4, first 2 shown]
	v_fma_f16 v48, v32, s0, v33
	v_mul_f16_e32 v35, 0xbbeb, v35
	v_add_f16_e32 v87, v91, v87
	v_mul_f16_e32 v91, 0xb08e, v42
	v_add_f16_e32 v86, v88, v86
	v_fma_f16 v88, v41, s6, v90
	v_add_f16_e32 v74, v76, v74
	v_fma_f16 v76, v41, s8, v78
	v_add_f16_e32 v62, v64, v62
	v_fma_f16 v64, v41, s14, v66
	v_add_f16_e32 v47, v48, v47
	v_fma_f16 v48, v34, s13, v35
	v_mul_f16_e32 v41, 0xba0c, v41
	v_add_f16_e32 v6, v18, v6
	v_fma_f16 v92, v43, s16, v91
	v_add_f16_e32 v86, v88, v86
	v_fma_f16 v88, v43, s9, v91
	v_add_f16_e32 v74, v76, v74
	v_fma_f16 v76, v43, s6, v79
	v_add_f16_e32 v62, v64, v62
	v_fma_f16 v64, v43, s12, v67
	v_add_f16_e32 v47, v48, v47
	v_fma_f16 v48, v40, s1, v41
	v_mul_f16_e32 v43, 0xb482, v43
	v_add_f16_e32 v6, v6, v7
	v_add_f16_e32 v7, v19, v20
	;; [unrolled: 1-line block ×3, first 2 shown]
	v_mul_f16_e32 v92, 0xb482, v37
	v_add_f16_e32 v47, v48, v47
	v_fma_f16 v48, v42, s7, v43
	v_mul_f16_e32 v37, 0xb853, v37
	v_add_f16_e32 v7, v7, v21
	v_mul_f16_e32 v94, 0x3853, v39
	v_add_f16_e32 v47, v48, v47
	v_fma_f16 v48, v36, s15, -v37
	v_mul_f16_e32 v39, 0xbb47, v39
	v_add_f16_e32 v6, v6, v8
	v_add_f16_e32 v7, v7, v22
	;; [unrolled: 1-line block ×3, first 2 shown]
	v_fma_f16 v49, v38, s0, -v39
	v_add_f16_e32 v6, v6, v9
	v_add_f16_e32 v7, v7, v23
	v_fma_f16 v93, v36, s7, v92
	v_add_f16_e32 v48, v49, v48
	v_mul_f16_e32 v49, 0xbbeb, v54
	v_add_f16_e32 v6, v6, v12
	v_add_f16_e32 v7, v7, v24
	v_fma_f16 v8, v30, s15, -v31
	v_add_f16_e32 v93, v18, v93
	v_fma_f16 v95, v38, s15, v94
	v_fma_f16 v50, v44, s13, -v49
	v_add_f16_e32 v6, v6, v13
	v_add_f16_e32 v7, v7, v26
	;; [unrolled: 1-line block ×3, first 2 shown]
	v_fma_f16 v9, v32, s0, -v33
	v_add_f16_e32 v93, v95, v93
	v_mul_f16_e32 v95, 0xba0c, v54
	v_add_f16_e32 v74, v76, v74
	v_fma_f16 v76, v36, s1, -v80
	v_add_f16_e32 v62, v64, v62
	v_fma_f16 v64, v36, s13, -v68
	v_add_f16_e32 v48, v50, v48
	v_mul_f16_e32 v50, 0xba0c, v57
	v_add_f16_e32 v6, v6, v10
	v_add_f16_e32 v7, v7, v28
	;; [unrolled: 1-line block ×3, first 2 shown]
	v_fma_f16 v9, v34, s13, -v35
	v_fma_f16 v96, v44, s1, v95
	v_add_f16_e32 v86, v88, v86
	v_fma_f16 v88, v36, s7, -v92
	v_add_f16_e32 v76, v18, v76
	v_fma_f16 v77, v38, s13, -v82
	;; [unrolled: 2-line block ×3, first 2 shown]
	v_fma_f16 v51, v56, s1, -v50
	v_add_f16_e32 v6, v6, v11
	v_add_f16_e32 v7, v7, v25
	;; [unrolled: 1-line block ×3, first 2 shown]
	v_fma_f16 v9, v40, s1, -v41
	v_add_f16_e32 v93, v96, v93
	v_mul_f16_e32 v96, 0x3b47, v57
	v_add_f16_e32 v88, v18, v88
	v_fma_f16 v89, v38, s15, -v94
	v_add_f16_e32 v76, v77, v76
	v_fma_f16 v77, v44, s15, -v83
	;; [unrolled: 2-line block ×3, first 2 shown]
	v_add_f16_e32 v48, v51, v48
	v_mul_f16_e32 v51, 0xb482, v60
	v_add_f16_e32 v6, v6, v14
	v_add_f16_e32 v7, v7, v27
	;; [unrolled: 1-line block ×3, first 2 shown]
	v_fma_f16 v9, v42, s7, -v43
	v_fma_f16 v97, v56, s0, v96
	v_add_f16_e32 v88, v89, v88
	v_fma_f16 v89, v44, s1, -v95
	v_add_f16_e32 v76, v77, v76
	v_fma_f16 v77, v56, s7, -v84
	;; [unrolled: 2-line block ×3, first 2 shown]
	v_fma_f16 v54, v59, s7, -v51
	v_add_f16_e32 v6, v6, v15
	v_add_f16_e32 v7, v7, v29
	;; [unrolled: 1-line block ×3, first 2 shown]
	v_fma_f16 v9, v36, s15, v37
	v_add_f16_e32 v93, v97, v93
	v_mul_f16_e32 v97, 0xbbeb, v60
	v_add_f16_e32 v88, v89, v88
	v_fma_f16 v89, v56, s0, -v96
	v_add_f16_e32 v76, v77, v76
	v_fma_f16 v77, v59, s0, -v85
	;; [unrolled: 2-line block ×3, first 2 shown]
	v_add_f16_e32 v48, v54, v48
	v_add_f16_e32 v9, v18, v9
	v_fma_f16 v10, v38, s0, v39
	v_pack_b32_f16 v6, v6, v7
	v_fma_f16 v98, v59, s13, v97
	v_add_f16_e32 v88, v89, v88
	v_fma_f16 v89, v59, s13, -v97
	v_add_f16_e32 v76, v77, v76
	v_add_f16_e32 v64, v65, v64
	;; [unrolled: 1-line block ×3, first 2 shown]
	v_fma_f16 v10, v44, s13, v49
	ds_write_b32 v16, v6
	v_pack_b32_f16 v6, v48, v47
	v_pack_b32_f16 v7, v46, v45
	v_add_f16_e32 v93, v98, v93
	v_add_f16_e32 v88, v89, v88
	;; [unrolled: 1-line block ×3, first 2 shown]
	v_fma_f16 v10, v56, s1, v50
	ds_write2_b32 v17, v6, v7 offset0:10 offset1:20
	v_pack_b32_f16 v6, v64, v62
	v_pack_b32_f16 v7, v76, v74
	v_add_f16_e32 v9, v10, v9
	v_fma_f16 v10, v59, s7, v51
	ds_write2_b32 v17, v6, v7 offset0:30 offset1:40
	v_pack_b32_f16 v6, v88, v86
	v_pack_b32_f16 v7, v93, v87
	v_add_f16_e32 v9, v10, v9
	ds_write2_b32 v17, v6, v7 offset0:50 offset1:60
	v_pack_b32_f16 v6, v81, v75
	v_pack_b32_f16 v7, v69, v63
	ds_write2_b32 v17, v6, v7 offset0:70 offset1:80
	v_pack_b32_f16 v6, v53, v52
	v_pack_b32_f16 v7, v9, v8
	ds_write2_b32 v17, v6, v7 offset0:90 offset1:100
.LBB0_22:
	s_or_b64 exec, exec, s[4:5]
	s_waitcnt lgkmcnt(0)
	s_barrier
	s_and_saveexec_b64 s[0:1], vcc
	s_cbranch_execz .LBB0_24
; %bb.23:
	v_mul_lo_u32 v6, s3, v3
	v_mul_lo_u32 v7, s2, v4
	v_mad_u64_u32 v[3:4], s[0:1], s2, v3, 0
	v_add3_u32 v4, v4, v7, v6
	v_lshlrev_b64 v[3:4], 2, v[3:4]
	v_lshl_add_u32 v7, v5, 2, v0
	v_mov_b32_e32 v0, s11
	v_add_co_u32_e32 v3, vcc, s10, v3
	v_addc_co_u32_e32 v4, vcc, v0, v4, vcc
	v_lshlrev_b64 v[0:1], 2, v[1:2]
	v_mov_b32_e32 v6, 0
	v_add_co_u32_e32 v8, vcc, v3, v0
	ds_read2_b32 v[2:3], v7 offset1:11
	v_addc_co_u32_e32 v4, vcc, v4, v1, vcc
	v_lshlrev_b64 v[0:1], 2, v[5:6]
	v_add_co_u32_e32 v0, vcc, v8, v0
	v_addc_co_u32_e32 v1, vcc, v4, v1, vcc
	s_waitcnt lgkmcnt(0)
	global_store_dword v[0:1], v2, off
	v_add_u32_e32 v0, 11, v5
	v_mov_b32_e32 v1, v6
	v_lshlrev_b64 v[0:1], 2, v[0:1]
	v_add_co_u32_e32 v0, vcc, v8, v0
	v_addc_co_u32_e32 v1, vcc, v4, v1, vcc
	global_store_dword v[0:1], v3, off
	v_add_u32_e32 v0, 22, v5
	v_mov_b32_e32 v1, v6
	ds_read2_b32 v[2:3], v7 offset0:22 offset1:33
	v_lshlrev_b64 v[0:1], 2, v[0:1]
	v_add_co_u32_e32 v0, vcc, v8, v0
	v_addc_co_u32_e32 v1, vcc, v4, v1, vcc
	s_waitcnt lgkmcnt(0)
	global_store_dword v[0:1], v2, off
	v_add_u32_e32 v0, 33, v5
	v_mov_b32_e32 v1, v6
	v_lshlrev_b64 v[0:1], 2, v[0:1]
	v_add_co_u32_e32 v0, vcc, v8, v0
	v_addc_co_u32_e32 v1, vcc, v4, v1, vcc
	global_store_dword v[0:1], v3, off
	v_add_u32_e32 v0, 44, v5
	v_mov_b32_e32 v1, v6
	ds_read2_b32 v[2:3], v7 offset0:44 offset1:55
	;; [unrolled: 14-line block ×4, first 2 shown]
	v_lshlrev_b64 v[0:1], 2, v[0:1]
	v_add_u32_e32 v5, 0x63, v5
	v_add_co_u32_e32 v0, vcc, v8, v0
	v_addc_co_u32_e32 v1, vcc, v4, v1, vcc
	s_waitcnt lgkmcnt(0)
	global_store_dword v[0:1], v2, off
	v_lshlrev_b64 v[0:1], 2, v[5:6]
	v_add_co_u32_e32 v0, vcc, v8, v0
	v_addc_co_u32_e32 v1, vcc, v4, v1, vcc
	global_store_dword v[0:1], v3, off
.LBB0_24:
	s_endpgm
	.section	.rodata,"a",@progbits
	.p2align	6, 0x0
	.amdhsa_kernel fft_rtc_fwd_len110_factors_2_5_11_wgs_198_tpt_11_half_op_CI_CI_unitstride_sbrr_C2R_dirReg
		.amdhsa_group_segment_fixed_size 0
		.amdhsa_private_segment_fixed_size 0
		.amdhsa_kernarg_size 104
		.amdhsa_user_sgpr_count 6
		.amdhsa_user_sgpr_private_segment_buffer 1
		.amdhsa_user_sgpr_dispatch_ptr 0
		.amdhsa_user_sgpr_queue_ptr 0
		.amdhsa_user_sgpr_kernarg_segment_ptr 1
		.amdhsa_user_sgpr_dispatch_id 0
		.amdhsa_user_sgpr_flat_scratch_init 0
		.amdhsa_user_sgpr_private_segment_size 0
		.amdhsa_uses_dynamic_stack 0
		.amdhsa_system_sgpr_private_segment_wavefront_offset 0
		.amdhsa_system_sgpr_workgroup_id_x 1
		.amdhsa_system_sgpr_workgroup_id_y 0
		.amdhsa_system_sgpr_workgroup_id_z 0
		.amdhsa_system_sgpr_workgroup_info 0
		.amdhsa_system_vgpr_workitem_id 0
		.amdhsa_next_free_vgpr 99
		.amdhsa_next_free_sgpr 28
		.amdhsa_reserve_vcc 1
		.amdhsa_reserve_flat_scratch 0
		.amdhsa_float_round_mode_32 0
		.amdhsa_float_round_mode_16_64 0
		.amdhsa_float_denorm_mode_32 3
		.amdhsa_float_denorm_mode_16_64 3
		.amdhsa_dx10_clamp 1
		.amdhsa_ieee_mode 1
		.amdhsa_fp16_overflow 0
		.amdhsa_exception_fp_ieee_invalid_op 0
		.amdhsa_exception_fp_denorm_src 0
		.amdhsa_exception_fp_ieee_div_zero 0
		.amdhsa_exception_fp_ieee_overflow 0
		.amdhsa_exception_fp_ieee_underflow 0
		.amdhsa_exception_fp_ieee_inexact 0
		.amdhsa_exception_int_div_zero 0
	.end_amdhsa_kernel
	.text
.Lfunc_end0:
	.size	fft_rtc_fwd_len110_factors_2_5_11_wgs_198_tpt_11_half_op_CI_CI_unitstride_sbrr_C2R_dirReg, .Lfunc_end0-fft_rtc_fwd_len110_factors_2_5_11_wgs_198_tpt_11_half_op_CI_CI_unitstride_sbrr_C2R_dirReg
                                        ; -- End function
	.section	.AMDGPU.csdata,"",@progbits
; Kernel info:
; codeLenInByte = 7128
; NumSgprs: 32
; NumVgprs: 99
; ScratchSize: 0
; MemoryBound: 0
; FloatMode: 240
; IeeeMode: 1
; LDSByteSize: 0 bytes/workgroup (compile time only)
; SGPRBlocks: 3
; VGPRBlocks: 24
; NumSGPRsForWavesPerEU: 32
; NumVGPRsForWavesPerEU: 99
; Occupancy: 2
; WaveLimiterHint : 1
; COMPUTE_PGM_RSRC2:SCRATCH_EN: 0
; COMPUTE_PGM_RSRC2:USER_SGPR: 6
; COMPUTE_PGM_RSRC2:TRAP_HANDLER: 0
; COMPUTE_PGM_RSRC2:TGID_X_EN: 1
; COMPUTE_PGM_RSRC2:TGID_Y_EN: 0
; COMPUTE_PGM_RSRC2:TGID_Z_EN: 0
; COMPUTE_PGM_RSRC2:TIDIG_COMP_CNT: 0
	.type	__hip_cuid_7933d1e2e66b2a80,@object ; @__hip_cuid_7933d1e2e66b2a80
	.section	.bss,"aw",@nobits
	.globl	__hip_cuid_7933d1e2e66b2a80
__hip_cuid_7933d1e2e66b2a80:
	.byte	0                               ; 0x0
	.size	__hip_cuid_7933d1e2e66b2a80, 1

	.ident	"AMD clang version 19.0.0git (https://github.com/RadeonOpenCompute/llvm-project roc-6.4.0 25133 c7fe45cf4b819c5991fe208aaa96edf142730f1d)"
	.section	".note.GNU-stack","",@progbits
	.addrsig
	.addrsig_sym __hip_cuid_7933d1e2e66b2a80
	.amdgpu_metadata
---
amdhsa.kernels:
  - .args:
      - .actual_access:  read_only
        .address_space:  global
        .offset:         0
        .size:           8
        .value_kind:     global_buffer
      - .offset:         8
        .size:           8
        .value_kind:     by_value
      - .actual_access:  read_only
        .address_space:  global
        .offset:         16
        .size:           8
        .value_kind:     global_buffer
      - .actual_access:  read_only
        .address_space:  global
        .offset:         24
        .size:           8
        .value_kind:     global_buffer
      - .actual_access:  read_only
        .address_space:  global
        .offset:         32
        .size:           8
        .value_kind:     global_buffer
      - .offset:         40
        .size:           8
        .value_kind:     by_value
      - .actual_access:  read_only
        .address_space:  global
        .offset:         48
        .size:           8
        .value_kind:     global_buffer
      - .actual_access:  read_only
        .address_space:  global
        .offset:         56
        .size:           8
        .value_kind:     global_buffer
      - .offset:         64
        .size:           4
        .value_kind:     by_value
      - .actual_access:  read_only
        .address_space:  global
        .offset:         72
        .size:           8
        .value_kind:     global_buffer
      - .actual_access:  read_only
        .address_space:  global
        .offset:         80
        .size:           8
        .value_kind:     global_buffer
      - .actual_access:  read_only
        .address_space:  global
        .offset:         88
        .size:           8
        .value_kind:     global_buffer
      - .actual_access:  write_only
        .address_space:  global
        .offset:         96
        .size:           8
        .value_kind:     global_buffer
    .group_segment_fixed_size: 0
    .kernarg_segment_align: 8
    .kernarg_segment_size: 104
    .language:       OpenCL C
    .language_version:
      - 2
      - 0
    .max_flat_workgroup_size: 198
    .name:           fft_rtc_fwd_len110_factors_2_5_11_wgs_198_tpt_11_half_op_CI_CI_unitstride_sbrr_C2R_dirReg
    .private_segment_fixed_size: 0
    .sgpr_count:     32
    .sgpr_spill_count: 0
    .symbol:         fft_rtc_fwd_len110_factors_2_5_11_wgs_198_tpt_11_half_op_CI_CI_unitstride_sbrr_C2R_dirReg.kd
    .uniform_work_group_size: 1
    .uses_dynamic_stack: false
    .vgpr_count:     99
    .vgpr_spill_count: 0
    .wavefront_size: 64
amdhsa.target:   amdgcn-amd-amdhsa--gfx906
amdhsa.version:
  - 1
  - 2
...

	.end_amdgpu_metadata
